;; amdgpu-corpus repo=ROCm/rocFFT kind=compiled arch=gfx1201 opt=O3
	.text
	.amdgcn_target "amdgcn-amd-amdhsa--gfx1201"
	.amdhsa_code_object_version 6
	.protected	fft_rtc_back_len3888_factors_16_3_3_3_3_3_wgs_324_tpt_324_halfLds_half_ip_CI_sbrr_dirReg ; -- Begin function fft_rtc_back_len3888_factors_16_3_3_3_3_3_wgs_324_tpt_324_halfLds_half_ip_CI_sbrr_dirReg
	.globl	fft_rtc_back_len3888_factors_16_3_3_3_3_3_wgs_324_tpt_324_halfLds_half_ip_CI_sbrr_dirReg
	.p2align	8
	.type	fft_rtc_back_len3888_factors_16_3_3_3_3_3_wgs_324_tpt_324_halfLds_half_ip_CI_sbrr_dirReg,@function
fft_rtc_back_len3888_factors_16_3_3_3_3_3_wgs_324_tpt_324_halfLds_half_ip_CI_sbrr_dirReg: ; @fft_rtc_back_len3888_factors_16_3_3_3_3_3_wgs_324_tpt_324_halfLds_half_ip_CI_sbrr_dirReg
; %bb.0:
	s_clause 0x2
	s_load_b64 s[12:13], s[0:1], 0x18
	s_load_b128 s[4:7], s[0:1], 0x0
	s_load_b64 s[10:11], s[0:1], 0x50
	v_mul_u32_u24_e32 v1, 0x195, v0
	v_mov_b32_e32 v3, 0
	s_delay_alu instid0(VALU_DEP_2) | instskip(NEXT) | instid1(VALU_DEP_1)
	v_lshrrev_b32_e32 v1, 17, v1
	v_add_nc_u32_e32 v5, ttmp9, v1
	v_mov_b32_e32 v1, 0
	v_mov_b32_e32 v2, 0
	;; [unrolled: 1-line block ×3, first 2 shown]
	s_wait_kmcnt 0x0
	s_load_b64 s[8:9], s[12:13], 0x0
	v_cmp_lt_u64_e64 s2, s[6:7], 2
	s_delay_alu instid0(VALU_DEP_1)
	s_and_b32 vcc_lo, exec_lo, s2
	s_cbranch_vccnz .LBB0_8
; %bb.1:
	s_load_b64 s[2:3], s[0:1], 0x10
	v_mov_b32_e32 v1, 0
	v_mov_b32_e32 v2, 0
	s_add_nc_u64 s[14:15], s[12:13], 8
	s_mov_b64 s[16:17], 1
	s_wait_kmcnt 0x0
	s_add_nc_u64 s[18:19], s[2:3], 8
	s_mov_b32 s3, 0
.LBB0_2:                                ; =>This Inner Loop Header: Depth=1
	s_load_b64 s[20:21], s[18:19], 0x0
                                        ; implicit-def: $vgpr7_vgpr8
	s_mov_b32 s2, exec_lo
	s_wait_kmcnt 0x0
	v_or_b32_e32 v4, s21, v6
	s_delay_alu instid0(VALU_DEP_1)
	v_cmpx_ne_u64_e32 0, v[3:4]
	s_wait_alu 0xfffe
	s_xor_b32 s22, exec_lo, s2
	s_cbranch_execz .LBB0_4
; %bb.3:                                ;   in Loop: Header=BB0_2 Depth=1
	s_cvt_f32_u32 s2, s20
	s_cvt_f32_u32 s23, s21
	s_sub_nc_u64 s[26:27], 0, s[20:21]
	s_wait_alu 0xfffe
	s_delay_alu instid0(SALU_CYCLE_1) | instskip(SKIP_1) | instid1(SALU_CYCLE_2)
	s_fmamk_f32 s2, s23, 0x4f800000, s2
	s_wait_alu 0xfffe
	v_s_rcp_f32 s2, s2
	s_delay_alu instid0(TRANS32_DEP_1) | instskip(SKIP_1) | instid1(SALU_CYCLE_2)
	s_mul_f32 s2, s2, 0x5f7ffffc
	s_wait_alu 0xfffe
	s_mul_f32 s23, s2, 0x2f800000
	s_wait_alu 0xfffe
	s_delay_alu instid0(SALU_CYCLE_2) | instskip(SKIP_1) | instid1(SALU_CYCLE_2)
	s_trunc_f32 s23, s23
	s_wait_alu 0xfffe
	s_fmamk_f32 s2, s23, 0xcf800000, s2
	s_cvt_u32_f32 s25, s23
	s_wait_alu 0xfffe
	s_delay_alu instid0(SALU_CYCLE_1) | instskip(SKIP_1) | instid1(SALU_CYCLE_2)
	s_cvt_u32_f32 s24, s2
	s_wait_alu 0xfffe
	s_mul_u64 s[28:29], s[26:27], s[24:25]
	s_wait_alu 0xfffe
	s_mul_hi_u32 s31, s24, s29
	s_mul_i32 s30, s24, s29
	s_mul_hi_u32 s2, s24, s28
	s_mul_i32 s33, s25, s28
	s_wait_alu 0xfffe
	s_add_nc_u64 s[30:31], s[2:3], s[30:31]
	s_mul_hi_u32 s23, s25, s28
	s_mul_hi_u32 s34, s25, s29
	s_add_co_u32 s2, s30, s33
	s_wait_alu 0xfffe
	s_add_co_ci_u32 s2, s31, s23
	s_mul_i32 s28, s25, s29
	s_add_co_ci_u32 s29, s34, 0
	s_wait_alu 0xfffe
	s_add_nc_u64 s[28:29], s[2:3], s[28:29]
	s_wait_alu 0xfffe
	v_add_co_u32 v4, s2, s24, s28
	s_delay_alu instid0(VALU_DEP_1) | instskip(SKIP_1) | instid1(VALU_DEP_1)
	s_cmp_lg_u32 s2, 0
	s_add_co_ci_u32 s25, s25, s29
	v_readfirstlane_b32 s24, v4
	s_wait_alu 0xfffe
	s_delay_alu instid0(VALU_DEP_1)
	s_mul_u64 s[26:27], s[26:27], s[24:25]
	s_wait_alu 0xfffe
	s_mul_hi_u32 s29, s24, s27
	s_mul_i32 s28, s24, s27
	s_mul_hi_u32 s2, s24, s26
	s_mul_i32 s30, s25, s26
	s_wait_alu 0xfffe
	s_add_nc_u64 s[28:29], s[2:3], s[28:29]
	s_mul_hi_u32 s23, s25, s26
	s_mul_hi_u32 s24, s25, s27
	s_wait_alu 0xfffe
	s_add_co_u32 s2, s28, s30
	s_add_co_ci_u32 s2, s29, s23
	s_mul_i32 s26, s25, s27
	s_add_co_ci_u32 s27, s24, 0
	s_wait_alu 0xfffe
	s_add_nc_u64 s[26:27], s[2:3], s[26:27]
	s_wait_alu 0xfffe
	v_add_co_u32 v4, s2, v4, s26
	s_delay_alu instid0(VALU_DEP_1) | instskip(SKIP_1) | instid1(VALU_DEP_1)
	s_cmp_lg_u32 s2, 0
	s_add_co_ci_u32 s2, s25, s27
	v_mul_hi_u32 v13, v5, v4
	s_wait_alu 0xfffe
	v_mad_co_u64_u32 v[7:8], null, v5, s2, 0
	v_mad_co_u64_u32 v[9:10], null, v6, v4, 0
	;; [unrolled: 1-line block ×3, first 2 shown]
	s_delay_alu instid0(VALU_DEP_3) | instskip(SKIP_1) | instid1(VALU_DEP_4)
	v_add_co_u32 v4, vcc_lo, v13, v7
	s_wait_alu 0xfffd
	v_add_co_ci_u32_e32 v7, vcc_lo, 0, v8, vcc_lo
	s_delay_alu instid0(VALU_DEP_2) | instskip(SKIP_1) | instid1(VALU_DEP_2)
	v_add_co_u32 v4, vcc_lo, v4, v9
	s_wait_alu 0xfffd
	v_add_co_ci_u32_e32 v4, vcc_lo, v7, v10, vcc_lo
	s_wait_alu 0xfffd
	v_add_co_ci_u32_e32 v7, vcc_lo, 0, v12, vcc_lo
	s_delay_alu instid0(VALU_DEP_2) | instskip(SKIP_1) | instid1(VALU_DEP_2)
	v_add_co_u32 v4, vcc_lo, v4, v11
	s_wait_alu 0xfffd
	v_add_co_ci_u32_e32 v9, vcc_lo, 0, v7, vcc_lo
	s_delay_alu instid0(VALU_DEP_2) | instskip(SKIP_1) | instid1(VALU_DEP_3)
	v_mul_lo_u32 v10, s21, v4
	v_mad_co_u64_u32 v[7:8], null, s20, v4, 0
	v_mul_lo_u32 v11, s20, v9
	s_delay_alu instid0(VALU_DEP_2) | instskip(NEXT) | instid1(VALU_DEP_2)
	v_sub_co_u32 v7, vcc_lo, v5, v7
	v_add3_u32 v8, v8, v11, v10
	s_delay_alu instid0(VALU_DEP_1) | instskip(SKIP_1) | instid1(VALU_DEP_1)
	v_sub_nc_u32_e32 v10, v6, v8
	s_wait_alu 0xfffd
	v_subrev_co_ci_u32_e64 v10, s2, s21, v10, vcc_lo
	v_add_co_u32 v11, s2, v4, 2
	s_wait_alu 0xf1ff
	v_add_co_ci_u32_e64 v12, s2, 0, v9, s2
	v_sub_co_u32 v13, s2, v7, s20
	v_sub_co_ci_u32_e32 v8, vcc_lo, v6, v8, vcc_lo
	s_wait_alu 0xf1ff
	v_subrev_co_ci_u32_e64 v10, s2, 0, v10, s2
	s_delay_alu instid0(VALU_DEP_3) | instskip(NEXT) | instid1(VALU_DEP_3)
	v_cmp_le_u32_e32 vcc_lo, s20, v13
	v_cmp_eq_u32_e64 s2, s21, v8
	s_wait_alu 0xfffd
	v_cndmask_b32_e64 v13, 0, -1, vcc_lo
	v_cmp_le_u32_e32 vcc_lo, s21, v10
	s_wait_alu 0xfffd
	v_cndmask_b32_e64 v14, 0, -1, vcc_lo
	v_cmp_le_u32_e32 vcc_lo, s20, v7
	;; [unrolled: 3-line block ×3, first 2 shown]
	s_wait_alu 0xfffd
	v_cndmask_b32_e64 v15, 0, -1, vcc_lo
	v_cmp_eq_u32_e32 vcc_lo, s21, v10
	s_wait_alu 0xf1ff
	s_delay_alu instid0(VALU_DEP_2)
	v_cndmask_b32_e64 v7, v15, v7, s2
	s_wait_alu 0xfffd
	v_cndmask_b32_e32 v10, v14, v13, vcc_lo
	v_add_co_u32 v13, vcc_lo, v4, 1
	s_wait_alu 0xfffd
	v_add_co_ci_u32_e32 v14, vcc_lo, 0, v9, vcc_lo
	s_delay_alu instid0(VALU_DEP_3) | instskip(SKIP_2) | instid1(VALU_DEP_3)
	v_cmp_ne_u32_e32 vcc_lo, 0, v10
	s_wait_alu 0xfffd
	v_cndmask_b32_e32 v10, v13, v11, vcc_lo
	v_cndmask_b32_e32 v8, v14, v12, vcc_lo
	v_cmp_ne_u32_e32 vcc_lo, 0, v7
	s_wait_alu 0xfffd
	s_delay_alu instid0(VALU_DEP_2)
	v_dual_cndmask_b32 v7, v4, v10 :: v_dual_cndmask_b32 v8, v9, v8
.LBB0_4:                                ;   in Loop: Header=BB0_2 Depth=1
	s_wait_alu 0xfffe
	s_and_not1_saveexec_b32 s2, s22
	s_cbranch_execz .LBB0_6
; %bb.5:                                ;   in Loop: Header=BB0_2 Depth=1
	v_cvt_f32_u32_e32 v4, s20
	s_sub_co_i32 s22, 0, s20
	s_delay_alu instid0(VALU_DEP_1) | instskip(NEXT) | instid1(TRANS32_DEP_1)
	v_rcp_iflag_f32_e32 v4, v4
	v_mul_f32_e32 v4, 0x4f7ffffe, v4
	s_delay_alu instid0(VALU_DEP_1) | instskip(SKIP_1) | instid1(VALU_DEP_1)
	v_cvt_u32_f32_e32 v4, v4
	s_wait_alu 0xfffe
	v_mul_lo_u32 v7, s22, v4
	s_delay_alu instid0(VALU_DEP_1) | instskip(NEXT) | instid1(VALU_DEP_1)
	v_mul_hi_u32 v7, v4, v7
	v_add_nc_u32_e32 v4, v4, v7
	s_delay_alu instid0(VALU_DEP_1) | instskip(NEXT) | instid1(VALU_DEP_1)
	v_mul_hi_u32 v4, v5, v4
	v_mul_lo_u32 v7, v4, s20
	v_add_nc_u32_e32 v8, 1, v4
	s_delay_alu instid0(VALU_DEP_2) | instskip(NEXT) | instid1(VALU_DEP_1)
	v_sub_nc_u32_e32 v7, v5, v7
	v_subrev_nc_u32_e32 v9, s20, v7
	v_cmp_le_u32_e32 vcc_lo, s20, v7
	s_wait_alu 0xfffd
	s_delay_alu instid0(VALU_DEP_2) | instskip(NEXT) | instid1(VALU_DEP_1)
	v_dual_cndmask_b32 v7, v7, v9 :: v_dual_cndmask_b32 v4, v4, v8
	v_cmp_le_u32_e32 vcc_lo, s20, v7
	s_delay_alu instid0(VALU_DEP_2) | instskip(SKIP_1) | instid1(VALU_DEP_1)
	v_add_nc_u32_e32 v8, 1, v4
	s_wait_alu 0xfffd
	v_dual_cndmask_b32 v7, v4, v8 :: v_dual_mov_b32 v8, v3
.LBB0_6:                                ;   in Loop: Header=BB0_2 Depth=1
	s_wait_alu 0xfffe
	s_or_b32 exec_lo, exec_lo, s2
	s_load_b64 s[22:23], s[14:15], 0x0
	s_delay_alu instid0(VALU_DEP_1)
	v_mul_lo_u32 v4, v8, s20
	v_mul_lo_u32 v11, v7, s21
	v_mad_co_u64_u32 v[9:10], null, v7, s20, 0
	s_add_nc_u64 s[16:17], s[16:17], 1
	s_add_nc_u64 s[14:15], s[14:15], 8
	s_wait_alu 0xfffe
	v_cmp_ge_u64_e64 s2, s[16:17], s[6:7]
	s_add_nc_u64 s[18:19], s[18:19], 8
	s_delay_alu instid0(VALU_DEP_2) | instskip(NEXT) | instid1(VALU_DEP_3)
	v_add3_u32 v4, v10, v11, v4
	v_sub_co_u32 v5, vcc_lo, v5, v9
	s_wait_alu 0xfffd
	s_delay_alu instid0(VALU_DEP_2) | instskip(SKIP_3) | instid1(VALU_DEP_2)
	v_sub_co_ci_u32_e32 v4, vcc_lo, v6, v4, vcc_lo
	s_and_b32 vcc_lo, exec_lo, s2
	s_wait_kmcnt 0x0
	v_mul_lo_u32 v6, s23, v5
	v_mul_lo_u32 v4, s22, v4
	v_mad_co_u64_u32 v[1:2], null, s22, v5, v[1:2]
	s_delay_alu instid0(VALU_DEP_1)
	v_add3_u32 v2, v6, v2, v4
	s_wait_alu 0xfffe
	s_cbranch_vccnz .LBB0_9
; %bb.7:                                ;   in Loop: Header=BB0_2 Depth=1
	v_dual_mov_b32 v5, v7 :: v_dual_mov_b32 v6, v8
	s_branch .LBB0_2
.LBB0_8:
	v_dual_mov_b32 v8, v6 :: v_dual_mov_b32 v7, v5
.LBB0_9:
	s_lshl_b64 s[2:3], s[6:7], 3
	v_mul_hi_u32_u24_e32 v6, 0xca4588, v0
	s_wait_alu 0xfffe
	s_add_nc_u64 s[2:3], s[12:13], s[2:3]
	v_dual_mov_b32 v20, 0 :: v_dual_mov_b32 v3, 0
	s_load_b64 s[2:3], s[2:3], 0x0
	s_load_b64 s[6:7], s[0:1], 0x20
	v_mul_u32_u24_e32 v6, 0x144, v6
	v_dual_mov_b32 v16, 0 :: v_dual_mov_b32 v5, 0
	v_dual_mov_b32 v18, 0 :: v_dual_mov_b32 v15, 0
	s_delay_alu instid0(VALU_DEP_3) | instskip(SKIP_2) | instid1(VALU_DEP_3)
	v_sub_nc_u32_e32 v9, v0, v6
	v_dual_mov_b32 v12, 0 :: v_dual_mov_b32 v21, 0
	v_dual_mov_b32 v4, 0 :: v_dual_mov_b32 v17, 0
	v_cmp_gt_u32_e64 s0, 0xf3, v9
	v_dual_mov_b32 v26, 0 :: v_dual_mov_b32 v13, 0
	v_dual_mov_b32 v19, 0 :: v_dual_add_nc_u32 v6, 0x3cc, v9
                                        ; implicit-def: $vgpr31
                                        ; implicit-def: $vgpr27
                                        ; implicit-def: $vgpr24
                                        ; implicit-def: $vgpr30
                                        ; implicit-def: $vgpr25
                                        ; implicit-def: $vgpr35
                                        ; implicit-def: $vgpr33
                                        ; implicit-def: $vgpr29
                                        ; implicit-def: $vgpr36
                                        ; implicit-def: $vgpr34
                                        ; implicit-def: $vgpr32
                                        ; implicit-def: $vgpr28
	v_mov_b32_e32 v11, 0
	s_wait_kmcnt 0x0
	v_mul_lo_u32 v10, s2, v8
	v_mul_lo_u32 v14, s3, v7
	v_mad_co_u64_u32 v[22:23], null, s2, v7, v[1:2]
	v_cmp_gt_u64_e32 vcc_lo, s[6:7], v[7:8]
	v_mov_b32_e32 v2, 0
	v_mov_b32_e32 v8, 0
                                        ; implicit-def: $vgpr7
	s_delay_alu instid0(VALU_DEP_4) | instskip(SKIP_2) | instid1(VALU_DEP_2)
	v_add3_u32 v23, v14, v23, v10
	v_add_nc_u32_e32 v10, 0xb64, v9
	s_and_b32 s1, vcc_lo, s0
                                        ; implicit-def: $vgpr14
	v_lshlrev_b64_e32 v[0:1], 2, v[22:23]
                                        ; implicit-def: $vgpr22
                                        ; implicit-def: $vgpr23
	s_wait_alu 0xfffe
	s_and_saveexec_b32 s2, s1
	s_cbranch_execz .LBB0_11
; %bb.10:
	v_add_nc_u32_e32 v13, 0xf3, v9
	v_add_nc_u32_e32 v15, 0x1e6, v9
	v_mad_co_u64_u32 v[2:3], null, s8, v9, 0
	v_add_nc_u32_e32 v17, 0x2d9, v9
	s_delay_alu instid0(VALU_DEP_4) | instskip(NEXT) | instid1(VALU_DEP_4)
	v_mad_co_u64_u32 v[4:5], null, s8, v13, 0
	v_mad_co_u64_u32 v[7:8], null, s8, v15, 0
	v_add_nc_u32_e32 v21, 0x4bf, v9
	v_add_co_u32 v37, s1, s10, v0
	s_wait_alu 0xf1ff
	v_add_co_ci_u32_e64 v38, s1, s11, v1, s1
	v_mad_co_u64_u32 v[11:12], null, s9, v9, v[3:4]
	v_mov_b32_e32 v3, v5
	v_dual_mov_b32 v5, v8 :: v_dual_add_nc_u32 v24, 0x5b2, v9
	v_add_nc_u32_e32 v33, 0x97e, v9
	v_add_nc_u32_e32 v26, 0x6a5, v9
	;; [unrolled: 1-line block ×3, first 2 shown]
	s_delay_alu instid0(VALU_DEP_4) | instskip(SKIP_3) | instid1(VALU_DEP_4)
	v_mad_co_u64_u32 v[15:16], null, s9, v15, v[5:6]
	v_mad_co_u64_u32 v[19:20], null, s8, v24, 0
	v_add_nc_u32_e32 v32, 0x88b, v9
	v_add_nc_u32_e32 v34, 0xe3d, v9
	v_mov_b32_e32 v8, v15
	v_mad_co_u64_u32 v[12:13], null, s9, v13, v[3:4]
	v_mad_co_u64_u32 v[13:14], null, s8, v17, 0
	v_mov_b32_e32 v3, v11
	v_mad_co_u64_u32 v[15:16], null, s8, v6, 0
	v_lshlrev_b64_e32 v[7:8], 2, v[7:8]
	v_mov_b32_e32 v5, v12
	v_mov_b32_e32 v11, v14
	s_delay_alu instid0(VALU_DEP_2) | instskip(NEXT) | instid1(VALU_DEP_2)
	v_lshlrev_b64_e32 v[4:5], 2, v[4:5]
	v_mad_co_u64_u32 v[11:12], null, s9, v17, v[11:12]
	v_mov_b32_e32 v12, v16
	v_mad_co_u64_u32 v[17:18], null, s8, v21, 0
	s_delay_alu instid0(VALU_DEP_3) | instskip(NEXT) | instid1(VALU_DEP_3)
	v_mov_b32_e32 v14, v11
	v_mad_co_u64_u32 v[11:12], null, s9, v6, v[12:13]
	s_delay_alu instid0(VALU_DEP_2) | instskip(NEXT) | instid1(VALU_DEP_4)
	v_lshlrev_b64_e32 v[12:13], 2, v[13:14]
	v_mov_b32_e32 v14, v18
	s_delay_alu instid0(VALU_DEP_3) | instskip(SKIP_1) | instid1(VALU_DEP_3)
	v_mov_b32_e32 v16, v11
	v_lshlrev_b64_e32 v[2:3], 2, v[2:3]
	v_mad_co_u64_u32 v[21:22], null, s9, v21, v[14:15]
	s_delay_alu instid0(VALU_DEP_2) | instskip(SKIP_1) | instid1(VALU_DEP_3)
	v_add_co_u32 v2, s1, v37, v2
	s_wait_alu 0xf1ff
	v_add_co_ci_u32_e64 v3, s1, v38, v3, s1
	s_delay_alu instid0(VALU_DEP_3)
	v_mov_b32_e32 v18, v21
	v_add_co_u32 v4, s1, v37, v4
	s_wait_alu 0xf1ff
	v_add_co_ci_u32_e64 v5, s1, v38, v5, s1
	v_add_co_u32 v7, s1, v37, v7
	s_wait_alu 0xf1ff
	v_add_co_ci_u32_e64 v8, s1, v38, v8, s1
	v_add_co_u32 v22, s1, v37, v12
	v_lshlrev_b64_e32 v[11:12], 2, v[15:16]
	v_mad_co_u64_u32 v[14:15], null, s8, v26, 0
	s_wait_alu 0xf1ff
	v_add_co_ci_u32_e64 v23, s1, v38, v13, s1
	v_mov_b32_e32 v13, v20
	s_delay_alu instid0(VALU_DEP_1)
	v_mad_co_u64_u32 v[20:21], null, s9, v24, v[13:14]
	v_add_co_u32 v24, s1, v37, v11
	s_wait_alu 0xf1ff
	v_add_co_ci_u32_e64 v25, s1, v38, v12, s1
	v_lshlrev_b64_e32 v[12:13], 2, v[17:18]
	v_mov_b32_e32 v11, v15
	s_delay_alu instid0(VALU_DEP_1)
	v_mad_co_u64_u32 v[15:16], null, s9, v26, v[11:12]
	v_mad_co_u64_u32 v[16:17], null, s8, v28, 0
	v_add_co_u32 v26, s1, v37, v12
	v_lshlrev_b64_e32 v[11:12], 2, v[19:20]
	s_wait_alu 0xf1ff
	v_add_co_ci_u32_e64 v27, s1, v38, v13, s1
	v_mad_co_u64_u32 v[18:19], null, s8, v32, 0
	v_mov_b32_e32 v13, v17
	s_delay_alu instid0(VALU_DEP_4)
	v_add_co_u32 v20, s1, v37, v11
	s_wait_alu 0xf1ff
	v_add_co_ci_u32_e64 v21, s1, v38, v12, s1
	v_lshlrev_b64_e32 v[11:12], 2, v[14:15]
	v_mad_co_u64_u32 v[13:14], null, s9, v28, v[13:14]
	v_mad_co_u64_u32 v[28:29], null, s8, v33, 0
	v_mov_b32_e32 v14, v19
	s_delay_alu instid0(VALU_DEP_4)
	v_add_co_u32 v30, s1, v37, v11
	s_wait_alu 0xf1ff
	v_add_co_ci_u32_e64 v31, s1, v38, v12, s1
	v_mov_b32_e32 v17, v13
	s_clause 0x7
	global_load_b32 v3, v[2:3], off
	global_load_b32 v5, v[4:5], off
	;; [unrolled: 1-line block ×8, first 2 shown]
	v_mad_co_u64_u32 v[14:15], null, s9, v32, v[14:15]
	v_mov_b32_e32 v15, v29
	v_lshlrev_b64_e32 v[16:17], 2, v[16:17]
	v_add_nc_u32_e32 v23, 0xa71, v9
	s_delay_alu instid0(VALU_DEP_4) | instskip(NEXT) | instid1(VALU_DEP_3)
	v_dual_mov_b32 v19, v14 :: v_dual_add_nc_u32 v30, 0xc57, v9
	v_mad_co_u64_u32 v[20:21], null, s9, v33, v[15:16]
	s_delay_alu instid0(VALU_DEP_3)
	v_mad_co_u64_u32 v[21:22], null, s8, v23, 0
	v_add_co_u32 v14, s1, v37, v16
	s_wait_alu 0xf1ff
	v_add_co_ci_u32_e64 v15, s1, v38, v17, s1
	v_lshlrev_b64_e32 v[16:17], 2, v[18:19]
	v_mad_co_u64_u32 v[18:19], null, s8, v10, 0
	v_mov_b32_e32 v7, v22
	v_add_nc_u32_e32 v33, 0xd4a, v9
	v_mov_b32_e32 v29, v20
	v_add_co_u32 v16, s1, v37, v16
	s_wait_alu 0xf1ff
	v_add_co_ci_u32_e64 v17, s1, v38, v17, s1
	s_wait_loadcnt 0x0
	v_mad_co_u64_u32 v[22:23], null, s9, v23, v[7:8]
	v_mad_co_u64_u32 v[23:24], null, s8, v30, 0
	v_mov_b32_e32 v7, v19
	v_lshlrev_b64_e32 v[19:20], 2, v[28:29]
	s_delay_alu instid0(VALU_DEP_2) | instskip(NEXT) | instid1(VALU_DEP_4)
	v_mad_co_u64_u32 v[25:26], null, s9, v10, v[7:8]
	v_mov_b32_e32 v7, v24
	v_mad_co_u64_u32 v[26:27], null, s8, v33, 0
	s_delay_alu instid0(VALU_DEP_4) | instskip(NEXT) | instid1(VALU_DEP_3)
	v_add_co_u32 v31, s1, v37, v19
	v_mad_co_u64_u32 v[28:29], null, s9, v30, v[7:8]
	v_mad_co_u64_u32 v[29:30], null, s8, v34, 0
	s_delay_alu instid0(VALU_DEP_4)
	v_mov_b32_e32 v7, v27
	v_mov_b32_e32 v19, v25
	s_wait_alu 0xf1ff
	v_add_co_ci_u32_e64 v32, s1, v38, v20, s1
	v_mov_b32_e32 v24, v28
	v_mad_co_u64_u32 v[27:28], null, s9, v33, v[7:8]
	v_mov_b32_e32 v7, v30
	v_lshlrev_b64_e32 v[20:21], 2, v[21:22]
	v_lshlrev_b64_e32 v[18:19], 2, v[18:19]
	;; [unrolled: 1-line block ×3, first 2 shown]
	s_delay_alu instid0(VALU_DEP_4) | instskip(NEXT) | instid1(VALU_DEP_4)
	v_mad_co_u64_u32 v[33:34], null, s9, v34, v[7:8]
	v_add_co_u32 v20, s1, v37, v20
	s_wait_alu 0xf1ff
	v_add_co_ci_u32_e64 v21, s1, v38, v21, s1
	v_add_co_u32 v18, s1, v37, v18
	s_delay_alu instid0(VALU_DEP_4)
	v_mov_b32_e32 v30, v33
	s_wait_alu 0xf1ff
	v_add_co_ci_u32_e64 v19, s1, v38, v19, s1
	v_lshlrev_b64_e32 v[24:25], 2, v[26:27]
	v_add_co_u32 v33, s1, v37, v22
	s_wait_alu 0xf1ff
	v_add_co_ci_u32_e64 v34, s1, v38, v23, s1
	v_lshlrev_b64_e32 v[22:23], 2, v[29:30]
	s_delay_alu instid0(VALU_DEP_4) | instskip(SKIP_3) | instid1(VALU_DEP_4)
	v_add_co_u32 v35, s1, v37, v24
	s_wait_alu 0xf1ff
	v_add_co_ci_u32_e64 v36, s1, v38, v25, s1
	v_lshrrev_b32_e32 v26, 16, v13
	v_add_co_u32 v37, s1, v37, v22
	s_wait_alu 0xf1ff
	v_add_co_ci_u32_e64 v38, s1, v38, v23, s1
	s_clause 0x7
	global_load_b32 v14, v[14:15], off
	global_load_b32 v27, v[16:17], off
	;; [unrolled: 1-line block ×8, first 2 shown]
	v_lshrrev_b32_e32 v20, 16, v3
	v_lshrrev_b32_e32 v16, 16, v5
	;; [unrolled: 1-line block ×7, first 2 shown]
	s_wait_loadcnt 0x7
	v_lshrrev_b32_e32 v7, 16, v14
	s_wait_loadcnt 0x6
	v_lshrrev_b32_e32 v31, 16, v27
	;; [unrolled: 2-line block ×8, first 2 shown]
.LBB0_11:
	s_wait_alu 0xfffe
	s_or_b32 exec_lo, exec_lo, s2
	v_sub_f16_e32 v37, v12, v22
	v_sub_f16_e32 v38, v18, v24
	v_sub_f16_e32 v34, v13, v34
	v_sub_f16_e32 v27, v5, v27
	v_sub_f16_e32 v29, v11, v29
	v_fma_f16 v12, v12, 2.0, -v37
	v_fma_f16 v22, v18, 2.0, -v38
	v_sub_f16_e32 v18, v26, v36
	v_sub_f16_e32 v31, v16, v31
	v_fma_f16 v13, v13, 2.0, -v34
	v_fma_f16 v5, v5, 2.0, -v27
	v_sub_f16_e32 v33, v17, v33
	v_fma_f16 v11, v11, 2.0, -v29
	v_sub_f16_e32 v24, v21, v35
	v_fma_f16 v26, v26, 2.0, -v18
	v_fma_f16 v16, v16, 2.0, -v31
	v_sub_f16_e32 v35, v4, v25
	v_sub_f16_e32 v36, v15, v30
	;; [unrolled: 1-line block ×4, first 2 shown]
	v_fma_f16 v17, v17, 2.0, -v33
	v_sub_f16_e32 v25, v12, v13
	v_add_f16_e32 v13, v37, v18
	v_sub_f16_e32 v18, v38, v34
	v_sub_f16_e32 v11, v5, v11
	v_fma_f16 v40, v4, 2.0, -v35
	v_fma_f16 v15, v15, 2.0, -v36
	;; [unrolled: 1-line block ×3, first 2 shown]
	v_sub_f16_e32 v28, v22, v26
	v_sub_f16_e32 v17, v16, v17
	v_fma_f16 v26, v37, 2.0, -v13
	v_add_f16_e32 v37, v27, v33
	v_fma_f16 v33, v38, 2.0, -v18
	v_fma_f16 v4, v5, 2.0, -v11
	v_sub_f16_e32 v5, v31, v29
	v_add_f16_e32 v32, v35, v32
	v_sub_f16_e32 v38, v36, v39
	v_fma_f16 v8, v8, 2.0, -v39
	v_fma_f16 v30, v16, 2.0, -v17
	;; [unrolled: 1-line block ×3, first 2 shown]
	v_sub_f16_e32 v19, v15, v19
	v_fma_f16 v41, v31, 2.0, -v5
	v_fma_f16 v31, v35, 2.0, -v32
	;; [unrolled: 1-line block ×3, first 2 shown]
	v_sub_f16_e32 v29, v40, v8
	v_fma_f16 v15, v15, 2.0, -v19
	v_mul_f16_e32 v36, 0x39a8, v26
	v_fmamk_f16 v8, v31, 0xb9a8, v16
	v_fmamk_f16 v26, v34, 0xb9a8, v41
	v_mul_f16_e32 v39, 0x39a8, v13
	v_sub_f16_e32 v42, v30, v15
	v_add_f16_e32 v13, v11, v19
	v_fmac_f16_e32 v8, 0x39a8, v34
	v_fmac_f16_e32 v26, 0xb9a8, v31
	v_fmamk_f16 v31, v32, 0x39a8, v37
	v_fmamk_f16 v34, v38, 0x39a8, v5
	v_sub_f16_e32 v15, v17, v29
	v_fma_f16 v27, v40, 2.0, -v29
	v_fma_f16 v29, v16, 2.0, -v8
	v_fmac_f16_e32 v31, 0x39a8, v38
	v_fmac_f16_e32 v34, 0xb9a8, v32
	v_fma_f16 v11, v11, 2.0, -v13
	v_fma_f16 v16, v17, 2.0, -v15
	v_sub_f16_e32 v23, v2, v23
	v_mul_f16_e32 v40, 0x39a8, v33
	v_mul_f16_e32 v44, 0x39a8, v18
	v_sub_f16_e32 v27, v4, v27
	v_fma_f16 v33, v41, 2.0, -v26
	v_fma_f16 v32, v37, 2.0, -v31
	;; [unrolled: 1-line block ×3, first 2 shown]
	v_mul_f16_e32 v35, 0x39a8, v11
	v_mul_f16_e32 v41, 0x39a8, v16
	;; [unrolled: 1-line block ×4, first 2 shown]
	s_and_saveexec_b32 s1, s0
	s_cbranch_execz .LBB0_13
; %bb.12:
	v_sub_f16_e32 v5, v3, v14
	v_fma_f16 v2, v2, 2.0, -v23
	v_fma_f16 v12, v12, 2.0, -v25
	;; [unrolled: 1-line block ×3, first 2 shown]
	v_lshl_add_u32 v48, v9, 5, 0
	v_add_f16_e32 v11, v5, v24
	v_fma_f16 v3, v3, 2.0, -v5
	s_delay_alu instid0(VALU_DEP_2) | instskip(SKIP_1) | instid1(VALU_DEP_3)
	v_fma_f16 v5, v5, 2.0, -v11
	v_add_f16_e32 v13, v11, v39
	v_sub_f16_e32 v2, v3, v2
	s_delay_alu instid0(VALU_DEP_3) | instskip(NEXT) | instid1(VALU_DEP_3)
	v_sub_f16_e32 v14, v5, v36
	v_add_f16_e32 v13, v44, v13
	s_delay_alu instid0(VALU_DEP_3) | instskip(SKIP_1) | instid1(VALU_DEP_4)
	v_add_f16_e32 v15, v2, v28
	v_fma_f16 v3, v3, 2.0, -v2
	v_add_f16_e32 v14, v40, v14
	s_delay_alu instid0(VALU_DEP_4) | instskip(NEXT) | instid1(VALU_DEP_4)
	v_fma_f16 v11, v11, 2.0, -v13
	v_fma_f16 v2, v2, 2.0, -v15
	s_delay_alu instid0(VALU_DEP_4)
	v_sub_f16_e32 v12, v3, v12
	v_fmamk_f16 v16, v31, 0x3b64, v13
	v_fma_f16 v5, v5, 2.0, -v14
	v_fmamk_f16 v18, v32, 0xb61f, v11
	v_sub_f16_e32 v45, v2, v35
	v_fma_f16 v3, v3, 2.0, -v12
	v_add_f16_e32 v17, v15, v38
	v_fmamk_f16 v47, v29, 0xbb64, v5
	v_fmamk_f16 v19, v8, 0x361f, v14
	v_fmac_f16_e32 v18, 0x3b64, v37
	v_add_f16_e32 v45, v41, v45
	v_sub_f16_e32 v4, v3, v4
	v_fmac_f16_e32 v47, 0x361f, v33
	v_fmac_f16_e32 v16, 0x361f, v34
	v_add_f16_e32 v17, v43, v17
	v_add_f16_e32 v46, v12, v42
	v_fmac_f16_e32 v19, 0x3b64, v26
	v_fma_f16 v11, v11, 2.0, -v18
	v_fma_f16 v2, v2, 2.0, -v45
	;; [unrolled: 1-line block ×8, first 2 shown]
	v_pack_b32_f16 v2, v2, v11
	v_pack_b32_f16 v3, v3, v5
	;; [unrolled: 1-line block ×8, first 2 shown]
	ds_store_2addr_b32 v48, v3, v2 offset1:1
	ds_store_2addr_b32 v48, v11, v13 offset0:2 offset1:3
	ds_store_2addr_b32 v48, v4, v5 offset0:4 offset1:5
	;; [unrolled: 1-line block ×3, first 2 shown]
.LBB0_13:
	s_wait_alu 0xfffe
	s_or_b32 exec_lo, exec_lo, s1
	v_lshl_add_u32 v11, v9, 1, 0
	global_wb scope:SCOPE_SE
	s_wait_dscnt 0x0
	s_barrier_signal -1
	s_barrier_wait -1
	global_inv scope:SCOPE_SE
	ds_load_u16 v2, v11
	ds_load_u16 v3, v11 offset:648
	ds_load_u16 v4, v11 offset:1296
	;; [unrolled: 1-line block ×11, first 2 shown]
	global_wb scope:SCOPE_SE
	s_wait_dscnt 0x0
	s_barrier_signal -1
	s_barrier_wait -1
	global_inv scope:SCOPE_SE
	s_and_saveexec_b32 s1, s0
	s_cbranch_execz .LBB0_15
; %bb.14:
	v_sub_f16_e32 v7, v20, v7
	v_fma_f16 v21, v21, 2.0, -v24
	v_fma_f16 v22, v22, 2.0, -v28
	;; [unrolled: 1-line block ×3, first 2 shown]
	s_delay_alu instid0(VALU_DEP_4) | instskip(SKIP_1) | instid1(VALU_DEP_2)
	v_sub_f16_e32 v23, v7, v23
	v_fma_f16 v20, v20, 2.0, -v7
	v_fma_f16 v7, v7, 2.0, -v23
	s_delay_alu instid0(VALU_DEP_2) | instskip(SKIP_1) | instid1(VALU_DEP_3)
	v_sub_f16_e32 v21, v20, v21
	v_add_f16_e32 v24, v23, v44
	v_sub_f16_e32 v28, v7, v40
	s_delay_alu instid0(VALU_DEP_3) | instskip(SKIP_1) | instid1(VALU_DEP_4)
	v_fma_f16 v20, v20, 2.0, -v21
	v_sub_f16_e32 v25, v21, v25
	v_sub_f16_e32 v24, v24, v39
	s_delay_alu instid0(VALU_DEP_4) | instskip(NEXT) | instid1(VALU_DEP_4)
	v_sub_f16_e32 v28, v28, v36
	v_sub_f16_e32 v22, v20, v22
	s_delay_alu instid0(VALU_DEP_4) | instskip(NEXT) | instid1(VALU_DEP_4)
	v_fma_f16 v21, v21, 2.0, -v25
	v_fma_f16 v23, v23, 2.0, -v24
	v_fmamk_f16 v34, v34, 0x3b64, v24
	v_fma_f16 v7, v7, 2.0, -v28
	v_fma_f16 v20, v20, 2.0, -v22
	v_sub_f16_e32 v39, v21, v41
	v_fmamk_f16 v37, v37, 0xb61f, v23
	v_fmac_f16_e32 v34, 0xb61f, v31
	v_fmamk_f16 v31, v33, 0xbb64, v7
	v_add_f16_e32 v36, v25, v43
	v_fmamk_f16 v26, v26, 0x361f, v28
	v_sub_f16_e32 v30, v20, v30
	v_sub_f16_e32 v33, v39, v35
	v_fmac_f16_e32 v37, 0xbb64, v32
	v_fmac_f16_e32 v31, 0xb61f, v29
	v_sub_f16_e32 v27, v22, v27
	v_sub_f16_e32 v36, v36, v38
	v_fmac_f16_e32 v26, 0xbb64, v8
	v_fma_f16 v20, v20, 2.0, -v30
	v_fma_f16 v21, v21, 2.0, -v33
	;; [unrolled: 1-line block ×8, first 2 shown]
	v_mad_u32_u24 v28, v9, 30, v11
	v_pack_b32_f16 v21, v21, v23
	v_pack_b32_f16 v7, v20, v7
	v_pack_b32_f16 v8, v8, v24
	v_pack_b32_f16 v22, v22, v25
	v_pack_b32_f16 v20, v30, v31
	v_pack_b32_f16 v23, v33, v37
	v_pack_b32_f16 v24, v36, v34
	v_pack_b32_f16 v25, v27, v26
	ds_store_2addr_b32 v28, v7, v21 offset1:1
	ds_store_2addr_b32 v28, v22, v8 offset0:2 offset1:3
	ds_store_2addr_b32 v28, v20, v23 offset0:4 offset1:5
	;; [unrolled: 1-line block ×3, first 2 shown]
.LBB0_15:
	s_wait_alu 0xfffe
	s_or_b32 exec_lo, exec_lo, s1
	v_and_b32_e32 v28, 15, v9
	v_add_nc_u32_e32 v8, 0x144, v9
	v_add_nc_u32_e32 v7, 0x288, v9
	v_and_b32_e32 v31, 15, v6
	global_wb scope:SCOPE_SE
	s_wait_dscnt 0x0
	v_lshlrev_b32_e32 v20, 3, v28
	v_and_b32_e32 v29, 15, v8
	v_and_b32_e32 v30, 15, v7
	s_barrier_signal -1
	s_barrier_wait -1
	global_inv scope:SCOPE_SE
	global_load_b64 v[20:21], v20, s[4:5]
	v_lshlrev_b32_e32 v22, 3, v29
	v_lshlrev_b32_e32 v24, 3, v30
	;; [unrolled: 1-line block ×3, first 2 shown]
	s_clause 0x2
	global_load_b64 v[22:23], v22, s[4:5]
	global_load_b64 v[24:25], v24, s[4:5]
	;; [unrolled: 1-line block ×3, first 2 shown]
	ds_load_u16 v32, v11
	ds_load_u16 v33, v11 offset:648
	ds_load_u16 v34, v11 offset:1296
	;; [unrolled: 1-line block ×11, first 2 shown]
	v_lshrrev_b32_e32 v40, 4, v9
	v_lshrrev_b32_e32 v45, 4, v6
	v_and_b32_e32 v46, 0xffff, v9
	v_lshrrev_b32_e32 v48, 4, v8
	v_lshrrev_b32_e32 v49, 4, v7
	v_mul_u32_u24_e32 v40, 48, v40
	v_and_b32_e32 v51, 0xffff, v8
	v_mul_u32_u24_e32 v45, 48, v45
	v_mul_u32_u24_e32 v50, 0xaaab, v46
	v_and_b32_e32 v52, 0xffff, v7
	v_and_b32_e32 v47, 0xffff, v6
	v_or_b32_e32 v28, v40, v28
	v_mul_u32_u24_e32 v40, 48, v48
	v_mul_u32_u24_e32 v48, 48, v49
	;; [unrolled: 1-line block ×3, first 2 shown]
	v_or_b32_e32 v31, v45, v31
	v_lshrrev_b32_e32 v45, 21, v50
	v_mul_u32_u24_e32 v50, 0xaaab, v52
	v_mul_u32_u24_e32 v53, 0xaaab, v47
	v_or_b32_e32 v29, v40, v29
	v_lshrrev_b32_e32 v40, 21, v49
	v_or_b32_e32 v30, v48, v30
	v_lshrrev_b32_e32 v48, 21, v50
	v_lshrrev_b32_e32 v53, 21, v53
	v_mul_lo_u16 v49, v45, 48
	v_mul_lo_u16 v54, v40, 48
	v_lshl_add_u32 v28, v28, 1, 0
	v_mul_lo_u16 v55, v48, 48
	v_mul_lo_u16 v50, v53, 48
	v_sub_nc_u16 v49, v9, v49
	v_sub_nc_u16 v54, v8, v54
	v_lshl_add_u32 v29, v29, 1, 0
	v_sub_nc_u16 v55, v7, v55
	v_sub_nc_u16 v50, v6, v50
	v_and_b32_e32 v49, 0xffff, v49
	v_and_b32_e32 v54, 0xffff, v54
	global_wb scope:SCOPE_SE
	s_wait_loadcnt_dscnt 0x0
	v_and_b32_e32 v55, 0xffff, v55
	v_and_b32_e32 v50, 0xffff, v50
	v_lshlrev_b32_e32 v57, 3, v49
	v_lshlrev_b32_e32 v59, 3, v54
	s_barrier_signal -1
	v_lshlrev_b32_e32 v60, 3, v55
	s_barrier_wait -1
	global_inv scope:SCOPE_SE
	v_lshl_add_u32 v31, v31, 1, 0
	v_lshl_add_u32 v30, v30, 1, 0
	v_cmp_gt_u32_e64 s0, 0x6c, v9
	v_lshrrev_b32_e32 v56, 16, v20
	v_lshrrev_b32_e32 v58, 16, v21
	;; [unrolled: 1-line block ×3, first 2 shown]
	s_delay_alu instid0(VALU_DEP_3) | instskip(SKIP_1) | instid1(VALU_DEP_4)
	v_mul_f16_e32 v61, v38, v56
	v_mul_f16_e32 v56, v18, v56
	;; [unrolled: 1-line block ×4, first 2 shown]
	v_lshrrev_b32_e32 v64, 16, v23
	v_lshrrev_b32_e32 v65, 16, v24
	;; [unrolled: 1-line block ×5, first 2 shown]
	v_fmac_f16_e32 v61, v18, v20
	v_fma_f16 v18, v38, v20, -v56
	v_fmac_f16_e32 v62, v19, v21
	v_fma_f16 v19, v41, v21, -v58
	v_mul_f16_e32 v20, v35, v63
	v_mul_f16_e32 v21, v14, v63
	v_mul_f16_e32 v38, v42, v64
	v_mul_f16_e32 v41, v17, v64
	v_mul_f16_e32 v56, v36, v65
	v_mul_f16_e32 v58, v13, v65
	v_mul_f16_e32 v63, v43, v66
	v_mul_f16_e32 v64, v16, v66
	v_mul_f16_e32 v65, v37, v67
	v_mul_f16_e32 v66, v12, v67
	v_mul_f16_e32 v67, v44, v68
	v_mul_f16_e32 v68, v15, v68
	v_fmac_f16_e32 v20, v14, v22
	v_fma_f16 v14, v35, v22, -v21
	v_fmac_f16_e32 v38, v17, v23
	v_fma_f16 v17, v42, v23, -v41
	;; [unrolled: 2-line block ×3, first 2 shown]
	v_fmac_f16_e32 v63, v16, v25
	v_fmac_f16_e32 v65, v12, v26
	;; [unrolled: 1-line block ×3, first 2 shown]
	v_add_f16_e32 v22, v61, v62
	v_add_f16_e32 v24, v32, v18
	v_fma_f16 v16, v43, v25, -v64
	v_fma_f16 v12, v37, v26, -v66
	v_fma_f16 v15, v44, v27, -v68
	v_sub_f16_e32 v23, v18, v19
	v_add_f16_e32 v18, v18, v19
	v_add_f16_e32 v21, v2, v61
	v_fmac_f16_e32 v2, -0.5, v22
	v_add_f16_e32 v19, v24, v19
	v_add_f16_e32 v22, v20, v38
	v_sub_f16_e32 v24, v14, v17
	v_add_f16_e32 v26, v33, v14
	v_add_f16_e32 v14, v14, v17
	;; [unrolled: 1-line block ×5, first 2 shown]
	v_sub_f16_e32 v36, v13, v16
	v_add_f16_e32 v37, v34, v13
	v_add_f16_e32 v13, v13, v16
	v_sub_f16_e32 v41, v56, v63
	v_sub_f16_e32 v44, v12, v15
	v_add_f16_e32 v56, v39, v12
	v_add_f16_e32 v12, v12, v15
	v_sub_f16_e32 v25, v61, v62
	v_fmac_f16_e32 v32, -0.5, v18
	v_add_f16_e32 v18, v3, v20
	v_sub_f16_e32 v20, v20, v38
	v_add_f16_e32 v42, v5, v65
	v_fmac_f16_e32 v3, -0.5, v22
	v_fmac_f16_e32 v33, -0.5, v14
	;; [unrolled: 1-line block ×4, first 2 shown]
	v_add_f16_e32 v21, v21, v62
	v_sub_f16_e32 v58, v65, v67
	v_fmac_f16_e32 v34, -0.5, v13
	v_fmac_f16_e32 v39, -0.5, v12
	v_fmamk_f16 v61, v23, 0xbaee, v2
	v_fmac_f16_e32 v2, 0x3aee, v23
	v_fmamk_f16 v23, v25, 0x3aee, v32
	v_fmac_f16_e32 v32, 0xbaee, v25
	v_add_f16_e32 v18, v18, v38
	v_add_f16_e32 v17, v26, v17
	;; [unrolled: 1-line block ×3, first 2 shown]
	v_fmamk_f16 v12, v24, 0xbaee, v3
	v_fmac_f16_e32 v3, 0x3aee, v24
	v_fmamk_f16 v22, v20, 0x3aee, v33
	v_fmac_f16_e32 v33, 0xbaee, v20
	v_fmamk_f16 v20, v36, 0xbaee, v4
	v_fmamk_f16 v25, v44, 0xbaee, v5
	v_add_f16_e32 v16, v37, v16
	v_add_f16_e32 v13, v42, v67
	;; [unrolled: 1-line block ×3, first 2 shown]
	v_fmac_f16_e32 v4, 0x3aee, v36
	v_fmamk_f16 v24, v41, 0x3aee, v34
	v_fmac_f16_e32 v34, 0xbaee, v41
	v_fmac_f16_e32 v5, 0x3aee, v44
	v_fmamk_f16 v26, v58, 0x3aee, v39
	v_fmac_f16_e32 v39, 0xbaee, v58
	ds_store_b16 v28, v21
	ds_store_b16 v28, v61 offset:32
	ds_store_b16 v28, v2 offset:64
	ds_store_b16 v29, v18
	ds_store_b16 v29, v12 offset:32
	ds_store_b16 v29, v3 offset:64
	;; [unrolled: 3-line block ×4, first 2 shown]
	global_wb scope:SCOPE_SE
	s_wait_dscnt 0x0
	s_barrier_signal -1
	s_barrier_wait -1
	global_inv scope:SCOPE_SE
	ds_load_u16 v18, v11
	ds_load_u16 v20, v11 offset:648
	ds_load_u16 v21, v11 offset:1296
	;; [unrolled: 1-line block ×11, first 2 shown]
	global_wb scope:SCOPE_SE
	s_wait_dscnt 0x0
	s_barrier_signal -1
	s_barrier_wait -1
	global_inv scope:SCOPE_SE
	ds_store_b16 v28, v19
	ds_store_b16 v28, v23 offset:32
	ds_store_b16 v28, v32 offset:64
	ds_store_b16 v29, v17
	ds_store_b16 v29, v22 offset:32
	ds_store_b16 v29, v33 offset:64
	;; [unrolled: 3-line block ×4, first 2 shown]
	global_wb scope:SCOPE_SE
	s_wait_dscnt 0x0
	s_barrier_signal -1
	s_barrier_wait -1
	global_inv scope:SCOPE_SE
	global_load_b64 v[2:3], v57, s[4:5] offset:128
	v_lshlrev_b32_e32 v14, 3, v50
	s_clause 0x2
	global_load_b64 v[4:5], v59, s[4:5] offset:128
	global_load_b64 v[12:13], v60, s[4:5] offset:128
	;; [unrolled: 1-line block ×3, first 2 shown]
	v_mul_u32_u24_e32 v16, 0xe38f, v46
	v_mul_u32_u24_e32 v17, 0xe38f, v47
	;; [unrolled: 1-line block ×4, first 2 shown]
	v_lshlrev_b32_e32 v44, 1, v55
	v_lshrrev_b32_e32 v22, 23, v16
	v_mul_u32_u24_e32 v16, 0xe38f, v51
	v_lshrrev_b32_e32 v23, 23, v17
	v_lshrrev_b32_e32 v29, 23, v19
	v_mul_u32_u24_e32 v19, 0x120, v40
	v_lshlrev_b32_e32 v40, 1, v54
	v_lshrrev_b32_e32 v28, 23, v16
	v_mul_lo_u16 v16, 0x90, v23
	v_mul_u32_u24_e32 v17, 0x120, v45
	v_mul_u32_u24_e32 v24, 0x120, v53
	v_lshlrev_b32_e32 v34, 1, v50
	v_add3_u32 v19, 0, v19, v40
	v_sub_nc_u16 v16, v6, v16
	v_add3_u32 v32, 0, v32, v44
	v_mul_lo_u16 v26, 0x90, v22
	v_mul_lo_u16 v30, 0x90, v28
	;; [unrolled: 1-line block ×3, first 2 shown]
	v_and_b32_e32 v33, 0xffff, v16
	v_lshlrev_b32_e32 v16, 1, v49
	ds_load_u16 v40, v11 offset:5184
	ds_load_u16 v44, v11
	ds_load_u16 v45, v11 offset:648
	ds_load_u16 v46, v11 offset:1296
	;; [unrolled: 1-line block ×10, first 2 shown]
	v_sub_nc_u16 v26, v9, v26
	v_sub_nc_u16 v30, v8, v30
	;; [unrolled: 1-line block ×3, first 2 shown]
	v_add3_u32 v16, 0, v17, v16
	v_add3_u32 v17, 0, v24, v34
	v_and_b32_e32 v26, 0xffff, v26
	v_and_b32_e32 v30, 0xffff, v30
	;; [unrolled: 1-line block ×3, first 2 shown]
	global_wb scope:SCOPE_SE
	s_wait_loadcnt_dscnt 0x0
	s_barrier_signal -1
	v_lshlrev_b32_e32 v39, 3, v26
	v_lshlrev_b32_e32 v24, 3, v30
	;; [unrolled: 1-line block ×3, first 2 shown]
	s_barrier_wait -1
	global_inv scope:SCOPE_SE
	v_mul_u32_u24_e32 v22, 0x360, v22
	v_mul_u32_u24_e32 v23, 0x360, v23
	;; [unrolled: 1-line block ×4, first 2 shown]
	v_lshlrev_b32_e32 v26, 1, v26
	v_lshlrev_b32_e32 v30, 1, v30
	;; [unrolled: 1-line block ×3, first 2 shown]
	s_delay_alu instid0(VALU_DEP_3) | instskip(NEXT) | instid1(VALU_DEP_3)
	v_add3_u32 v22, 0, v22, v26
	v_add3_u32 v26, 0, v28, v30
	s_delay_alu instid0(VALU_DEP_3)
	v_add3_u32 v28, 0, v29, v31
	v_lshrrev_b32_e32 v55, 16, v2
	v_lshrrev_b32_e32 v56, 16, v3
	;; [unrolled: 1-line block ×8, first 2 shown]
	v_mul_f16_e32 v63, v47, v55
	v_mul_f16_e32 v55, v36, v55
	;; [unrolled: 1-line block ×16, first 2 shown]
	v_fmac_f16_e32 v63, v36, v2
	v_fma_f16 v2, v47, v2, -v55
	v_fmac_f16_e32 v64, v38, v3
	v_fma_f16 v3, v40, v3, -v56
	;; [unrolled: 2-line block ×4, first 2 shown]
	v_fmac_f16_e32 v67, v27, v12
	v_fmac_f16_e32 v68, v42, v13
	;; [unrolled: 1-line block ×4, first 2 shown]
	v_fma_f16 v12, v49, v12, -v59
	v_fma_f16 v13, v53, v13, -v60
	;; [unrolled: 1-line block ×4, first 2 shown]
	v_add_f16_e32 v27, v63, v64
	v_sub_f16_e32 v35, v2, v3
	v_add_f16_e32 v36, v44, v2
	v_add_f16_e32 v2, v2, v3
	;; [unrolled: 1-line block ×3, first 2 shown]
	v_sub_f16_e32 v42, v4, v5
	v_add_f16_e32 v43, v45, v4
	v_add_f16_e32 v4, v4, v5
	;; [unrolled: 1-line block ×5, first 2 shown]
	v_sub_f16_e32 v50, v12, v13
	v_add_f16_e32 v52, v46, v12
	v_add_f16_e32 v12, v12, v13
	v_sub_f16_e32 v56, v14, v15
	v_add_f16_e32 v57, v51, v14
	v_add_f16_e32 v14, v14, v15
	v_sub_f16_e32 v38, v63, v64
	v_fmac_f16_e32 v18, -0.5, v27
	v_fmac_f16_e32 v44, -0.5, v2
	v_add_f16_e32 v40, v20, v65
	v_sub_f16_e32 v47, v65, v66
	v_add_f16_e32 v48, v21, v67
	v_add_f16_e32 v54, v37, v69
	v_fmac_f16_e32 v20, -0.5, v41
	v_fmac_f16_e32 v45, -0.5, v4
	;; [unrolled: 1-line block ×4, first 2 shown]
	v_sub_f16_e32 v53, v67, v68
	v_sub_f16_e32 v58, v69, v70
	v_add_f16_e32 v25, v25, v64
	v_add_f16_e32 v3, v36, v3
	v_fmac_f16_e32 v46, -0.5, v12
	v_fmac_f16_e32 v51, -0.5, v14
	v_fmamk_f16 v14, v35, 0xbaee, v18
	v_fmamk_f16 v27, v38, 0x3aee, v44
	v_fmac_f16_e32 v18, 0x3aee, v35
	v_fmac_f16_e32 v44, 0xbaee, v38
	v_add_f16_e32 v2, v40, v66
	v_add_f16_e32 v5, v43, v5
	;; [unrolled: 1-line block ×4, first 2 shown]
	v_fmamk_f16 v35, v42, 0xbaee, v20
	v_fmamk_f16 v36, v47, 0x3aee, v45
	;; [unrolled: 1-line block ×4, first 2 shown]
	v_fmac_f16_e32 v37, 0x3aee, v56
	v_add_f16_e32 v4, v48, v68
	v_add_f16_e32 v15, v57, v15
	v_fmac_f16_e32 v20, 0x3aee, v42
	v_fmac_f16_e32 v45, 0xbaee, v47
	;; [unrolled: 1-line block ×3, first 2 shown]
	v_fmamk_f16 v40, v53, 0x3aee, v46
	v_fmac_f16_e32 v46, 0xbaee, v53
	v_fmamk_f16 v42, v58, 0x3aee, v51
	v_fmac_f16_e32 v51, 0xbaee, v58
	ds_store_b16 v16, v25
	ds_store_b16 v16, v14 offset:96
	ds_store_b16 v16, v18 offset:192
	ds_store_b16 v19, v2
	ds_store_b16 v19, v35 offset:96
	ds_store_b16 v19, v20 offset:192
	;; [unrolled: 3-line block ×4, first 2 shown]
	global_wb scope:SCOPE_SE
	s_wait_dscnt 0x0
	s_barrier_signal -1
	s_barrier_wait -1
	global_inv scope:SCOPE_SE
	ds_load_u16 v25, v11
	ds_load_u16 v35, v11 offset:648
	ds_load_u16 v37, v11 offset:1296
	;; [unrolled: 1-line block ×11, first 2 shown]
	global_wb scope:SCOPE_SE
	s_wait_dscnt 0x0
	s_barrier_signal -1
	s_barrier_wait -1
	global_inv scope:SCOPE_SE
	ds_store_b16 v16, v3
	ds_store_b16 v16, v27 offset:96
	ds_store_b16 v16, v44 offset:192
	ds_store_b16 v19, v5
	ds_store_b16 v19, v36 offset:96
	ds_store_b16 v19, v45 offset:192
	;; [unrolled: 3-line block ×4, first 2 shown]
	v_mov_b32_e32 v5, 0
	global_wb scope:SCOPE_SE
	s_wait_dscnt 0x0
	s_barrier_signal -1
	s_barrier_wait -1
	global_inv scope:SCOPE_SE
	global_load_b64 v[12:13], v39, s[4:5] offset:512
	v_lshlrev_b32_e32 v2, 3, v33
	s_clause 0x2
	global_load_b64 v[14:15], v24, s[4:5] offset:512
	global_load_b64 v[16:17], v34, s[4:5] offset:512
	;; [unrolled: 1-line block ×3, first 2 shown]
	v_lshlrev_b32_e32 v33, 1, v33
	v_lshrrev_b16 v2, 4, v6
	v_lshrrev_b16 v20, 4, v7
	v_add_nc_u32_e32 v3, 0xffffff94, v9
	v_lshlrev_b32_e32 v4, 1, v9
	v_add3_u32 v23, 0, v23, v33
	ds_load_u16 v30, v11 offset:5184
	ds_load_u16 v31, v11
	ds_load_u16 v33, v11 offset:648
	ds_load_u16 v34, v11 offset:1296
	;; [unrolled: 1-line block ×10, first 2 shown]
	v_and_b32_e32 v2, 0xffff, v2
	v_and_b32_e32 v20, 0xffff, v20
	s_wait_alu 0xf1ff
	v_cndmask_b32_e64 v21, v3, v8, s0
	global_wb scope:SCOPE_SE
	s_wait_loadcnt_dscnt 0x0
	s_barrier_signal -1
	v_mul_u32_u24_e32 v24, 0x12f7, v2
	v_mul_u32_u24_e32 v20, 0x12f7, v20
	v_lshlrev_b64_e32 v[2:3], 2, v[4:5]
	v_lshlrev_b32_e32 v4, 1, v21
	s_barrier_wait -1
	v_lshrrev_b32_e32 v21, 17, v24
	v_lshrrev_b32_e32 v24, 17, v20
	global_inv scope:SCOPE_SE
	v_add_co_u32 v2, s0, s4, v2
	v_mul_lo_u16 v27, 0x1b0, v21
	v_mul_lo_u16 v32, 0x1b0, v24
	v_lshlrev_b64_e32 v[20:21], 2, v[4:5]
	s_wait_alu 0xf1ff
	v_add_co_ci_u32_e64 v3, s0, s5, v3, s0
	v_sub_nc_u16 v27, v6, v27
	v_sub_nc_u16 v32, v7, v32
	s_delay_alu instid0(VALU_DEP_4) | instskip(NEXT) | instid1(VALU_DEP_3)
	v_add_co_u32 v20, s0, s4, v20
	v_and_b32_e32 v27, 0xffff, v27
	s_delay_alu instid0(VALU_DEP_3) | instskip(SKIP_3) | instid1(VALU_DEP_3)
	v_and_b32_e32 v32, 0xffff, v32
	s_wait_alu 0xf1ff
	v_add_co_ci_u32_e64 v21, s0, s5, v21, s0
	v_cmp_lt_u32_e64 s0, 0x6b, v9
	v_lshlrev_b32_e32 v29, 3, v32
	v_lshrrev_b32_e32 v54, 16, v12
	v_lshrrev_b32_e32 v55, 16, v13
	;; [unrolled: 1-line block ×8, first 2 shown]
	v_mul_f16_e32 v62, v36, v54
	v_mul_f16_e32 v54, v47, v54
	;; [unrolled: 1-line block ×16, first 2 shown]
	v_fmac_f16_e32 v62, v47, v12
	v_fma_f16 v12, v36, v12, -v54
	v_fmac_f16_e32 v63, v49, v13
	v_fma_f16 v13, v30, v13, -v55
	;; [unrolled: 2-line block ×4, first 2 shown]
	v_fmac_f16_e32 v66, v41, v16
	v_fmac_f16_e32 v67, v52, v17
	;; [unrolled: 1-line block ×4, first 2 shown]
	v_fma_f16 v16, v40, v16, -v58
	v_fma_f16 v17, v46, v17, -v59
	;; [unrolled: 1-line block ×4, first 2 shown]
	v_add_f16_e32 v36, v62, v63
	v_sub_f16_e32 v38, v12, v13
	v_add_f16_e32 v39, v31, v12
	v_add_f16_e32 v12, v12, v13
	;; [unrolled: 1-line block ×3, first 2 shown]
	v_sub_f16_e32 v43, v14, v15
	v_add_f16_e32 v45, v33, v14
	v_add_f16_e32 v14, v14, v15
	;; [unrolled: 1-line block ×5, first 2 shown]
	v_sub_f16_e32 v50, v16, v17
	v_add_f16_e32 v51, v34, v16
	v_add_f16_e32 v16, v16, v17
	v_sub_f16_e32 v55, v18, v19
	v_add_f16_e32 v56, v44, v18
	v_add_f16_e32 v18, v18, v19
	v_sub_f16_e32 v40, v62, v63
	v_fmac_f16_e32 v25, -0.5, v36
	v_fmac_f16_e32 v31, -0.5, v12
	v_add_f16_e32 v41, v35, v64
	v_sub_f16_e32 v46, v64, v65
	v_add_f16_e32 v47, v37, v66
	v_add_f16_e32 v53, v48, v68
	v_fmac_f16_e32 v35, -0.5, v42
	v_fmac_f16_e32 v33, -0.5, v14
	;; [unrolled: 1-line block ×4, first 2 shown]
	v_sub_f16_e32 v52, v66, v67
	v_sub_f16_e32 v57, v68, v69
	v_add_f16_e32 v30, v30, v63
	v_add_f16_e32 v13, v39, v13
	v_fmac_f16_e32 v34, -0.5, v16
	v_fmac_f16_e32 v44, -0.5, v18
	v_fmamk_f16 v18, v38, 0xbaee, v25
	v_fmamk_f16 v36, v40, 0x3aee, v31
	v_fmac_f16_e32 v25, 0x3aee, v38
	v_fmac_f16_e32 v31, 0xbaee, v40
	v_add_f16_e32 v12, v41, v65
	v_add_f16_e32 v15, v45, v15
	v_fmamk_f16 v38, v43, 0xbaee, v35
	v_fmac_f16_e32 v35, 0x3aee, v43
	v_fmamk_f16 v39, v46, 0x3aee, v33
	v_fmamk_f16 v40, v50, 0xbaee, v37
	v_fmac_f16_e32 v37, 0x3aee, v50
	v_fmamk_f16 v42, v55, 0xbaee, v48
	v_fmac_f16_e32 v48, 0x3aee, v55
	v_add_f16_e32 v14, v47, v67
	v_add_f16_e32 v17, v51, v17
	;; [unrolled: 1-line block ×4, first 2 shown]
	v_fmac_f16_e32 v33, 0xbaee, v46
	v_fmamk_f16 v41, v52, 0x3aee, v34
	v_fmac_f16_e32 v34, 0xbaee, v52
	v_fmamk_f16 v43, v57, 0x3aee, v44
	v_fmac_f16_e32 v44, 0xbaee, v57
	ds_store_b16 v22, v30
	ds_store_b16 v22, v18 offset:288
	ds_store_b16 v22, v25 offset:576
	ds_store_b16 v26, v12
	ds_store_b16 v26, v38 offset:288
	ds_store_b16 v26, v35 offset:576
	;; [unrolled: 3-line block ×4, first 2 shown]
	global_wb scope:SCOPE_SE
	s_wait_dscnt 0x0
	s_barrier_signal -1
	s_barrier_wait -1
	global_inv scope:SCOPE_SE
	ds_load_u16 v25, v11
	ds_load_u16 v30, v11 offset:648
	ds_load_u16 v35, v11 offset:1296
	;; [unrolled: 1-line block ×11, first 2 shown]
	global_wb scope:SCOPE_SE
	s_wait_dscnt 0x0
	s_barrier_signal -1
	s_barrier_wait -1
	global_inv scope:SCOPE_SE
	ds_store_b16 v22, v13
	ds_store_b16 v22, v36 offset:288
	ds_store_b16 v22, v31 offset:576
	ds_store_b16 v26, v15
	ds_store_b16 v26, v39 offset:288
	ds_store_b16 v26, v33 offset:576
	;; [unrolled: 3-line block ×4, first 2 shown]
	global_wb scope:SCOPE_SE
	s_wait_dscnt 0x0
	s_barrier_signal -1
	s_barrier_wait -1
	global_inv scope:SCOPE_SE
	global_load_b64 v[12:13], v[2:3], off offset:1664
	v_lshlrev_b32_e32 v18, 3, v27
	s_clause 0x2
	global_load_b64 v[14:15], v[20:21], off offset:1664
	global_load_b64 v[16:17], v29, s[4:5] offset:1664
	global_load_b64 v[18:19], v18, s[4:5] offset:1664
	s_wait_alu 0xf1ff
	v_cndmask_b32_e64 v20, 0, 0xa20, s0
	v_mul_u32_u24_e32 v21, 0xa20, v24
	v_lshlrev_b32_e32 v22, 1, v32
	v_lshl_add_u32 v24, v27, 1, 0
	s_delay_alu instid0(VALU_DEP_4) | instskip(NEXT) | instid1(VALU_DEP_3)
	v_add3_u32 v4, 0, v20, v4
	v_add3_u32 v26, 0, v21, v22
	ds_load_u16 v20, v11 offset:5184
	ds_load_u16 v27, v11
	ds_load_u16 v28, v11 offset:648
	ds_load_u16 v29, v11 offset:1296
	;; [unrolled: 1-line block ×10, first 2 shown]
	global_wb scope:SCOPE_SE
	s_wait_loadcnt_dscnt 0x0
	s_barrier_signal -1
	s_barrier_wait -1
	global_inv scope:SCOPE_SE
	v_lshrrev_b32_e32 v39, 16, v12
	v_lshrrev_b32_e32 v41, 16, v13
	;; [unrolled: 1-line block ×8, first 2 shown]
	v_mul_f16_e32 v54, v21, v39
	v_mul_f16_e32 v55, v20, v41
	;; [unrolled: 1-line block ×11, first 2 shown]
	v_fmac_f16_e32 v54, v42, v12
	v_fmac_f16_e32 v55, v46, v13
	v_mul_f16_e32 v44, v47, v44
	v_mul_f16_e32 v50, v38, v50
	;; [unrolled: 1-line block ×5, first 2 shown]
	v_fmac_f16_e32 v56, v37, v14
	v_fmac_f16_e32 v57, v47, v15
	;; [unrolled: 1-line block ×6, first 2 shown]
	v_fma_f16 v12, v21, v12, -v39
	v_fma_f16 v13, v20, v13, -v41
	;; [unrolled: 1-line block ×3, first 2 shown]
	v_add_f16_e32 v21, v54, v55
	v_fma_f16 v15, v33, v15, -v44
	v_fma_f16 v16, v23, v16, -v50
	;; [unrolled: 1-line block ×5, first 2 shown]
	v_add_f16_e32 v34, v56, v57
	v_add_f16_e32 v40, v58, v59
	;; [unrolled: 1-line block ×4, first 2 shown]
	v_sub_f16_e32 v22, v12, v13
	v_add_f16_e32 v23, v27, v12
	v_add_f16_e32 v12, v12, v13
	;; [unrolled: 1-line block ×4, first 2 shown]
	v_fmac_f16_e32 v25, -0.5, v21
	v_sub_f16_e32 v36, v14, v15
	v_add_f16_e32 v14, v14, v15
	v_add_f16_e32 v39, v35, v58
	v_sub_f16_e32 v41, v16, v17
	v_add_f16_e32 v42, v29, v16
	v_add_f16_e32 v16, v16, v17
	;; [unrolled: 1-line block ×3, first 2 shown]
	v_sub_f16_e32 v47, v18, v19
	v_add_f16_e32 v48, v32, v18
	v_add_f16_e32 v18, v18, v19
	v_fmac_f16_e32 v30, -0.5, v34
	v_fmac_f16_e32 v35, -0.5, v40
	;; [unrolled: 1-line block ×3, first 2 shown]
	v_add_f16_e32 v20, v20, v55
	v_fmac_f16_e32 v27, -0.5, v12
	v_add_f16_e32 v12, v33, v57
	v_add_f16_e32 v33, v37, v15
	v_fmamk_f16 v15, v22, 0xbaee, v25
	v_fmac_f16_e32 v25, 0x3aee, v22
	v_add_f16_e32 v50, v23, v13
	v_fmac_f16_e32 v28, -0.5, v14
	v_add_f16_e32 v13, v39, v59
	v_add_f16_e32 v34, v42, v17
	v_fmac_f16_e32 v29, -0.5, v16
	v_add_f16_e32 v14, v44, v61
	v_fmac_f16_e32 v32, -0.5, v18
	v_fmamk_f16 v16, v36, 0xbaee, v30
	v_fmamk_f16 v17, v41, 0xbaee, v35
	;; [unrolled: 1-line block ×3, first 2 shown]
	v_add_f16_e32 v37, v48, v19
	v_fmac_f16_e32 v30, 0x3aee, v36
	v_fmac_f16_e32 v35, 0x3aee, v41
	;; [unrolled: 1-line block ×3, first 2 shown]
	ds_store_b16 v11, v20
	ds_store_b16 v11, v15 offset:864
	ds_store_b16 v11, v25 offset:1728
	ds_store_b16 v4, v12
	ds_store_b16 v4, v16 offset:864
	ds_store_b16 v4, v30 offset:1728
	ds_store_b16 v26, v13
	ds_store_b16 v26, v17 offset:864
	ds_store_b16 v26, v35 offset:1728
	ds_store_b16 v24, v14 offset:5184
	ds_store_b16 v24, v18 offset:6048
	;; [unrolled: 1-line block ×3, first 2 shown]
	global_wb scope:SCOPE_SE
	s_wait_dscnt 0x0
	s_barrier_signal -1
	s_barrier_wait -1
	global_inv scope:SCOPE_SE
	ds_load_u16 v12, v11
	ds_load_u16 v13, v11 offset:648
	ds_load_u16 v14, v11 offset:1296
	;; [unrolled: 1-line block ×11, first 2 shown]
	v_sub_f16_e32 v31, v54, v55
	v_sub_f16_e32 v38, v56, v57
	;; [unrolled: 1-line block ×4, first 2 shown]
	global_wb scope:SCOPE_SE
	s_wait_dscnt 0x0
	v_fmamk_f16 v39, v31, 0x3aee, v27
	v_fmac_f16_e32 v27, 0xbaee, v31
	v_fmamk_f16 v31, v38, 0x3aee, v28
	v_fmac_f16_e32 v28, 0xbaee, v38
	;; [unrolled: 2-line block ×4, first 2 shown]
	s_barrier_signal -1
	s_barrier_wait -1
	global_inv scope:SCOPE_SE
	ds_store_b16 v11, v50
	ds_store_b16 v11, v39 offset:864
	ds_store_b16 v11, v27 offset:1728
	ds_store_b16 v4, v33
	ds_store_b16 v4, v31 offset:864
	ds_store_b16 v4, v28 offset:1728
	;; [unrolled: 3-line block ×3, first 2 shown]
	ds_store_b16 v24, v37 offset:5184
	ds_store_b16 v24, v38 offset:6048
	;; [unrolled: 1-line block ×3, first 2 shown]
	global_wb scope:SCOPE_SE
	s_wait_dscnt 0x0
	s_barrier_signal -1
	s_barrier_wait -1
	global_inv scope:SCOPE_SE
	s_and_saveexec_b32 s0, vcc_lo
	s_cbranch_execz .LBB0_17
; %bb.16:
	v_mad_co_u64_u32 v[28:29], null, s8, v9, 0
	v_lshlrev_b32_e32 v4, 1, v6
	v_add_nc_u32_e32 v43, 0xa20, v9
	v_mad_co_u64_u32 v[30:31], null, s8, v10, 0
	v_add_nc_u32_e32 v44, 0x654, v9
	s_delay_alu instid0(VALU_DEP_4) | instskip(SKIP_4) | instid1(VALU_DEP_4)
	v_lshlrev_b64_e32 v[24:25], 2, v[4:5]
	v_lshlrev_b32_e32 v4, 1, v7
	v_mad_co_u64_u32 v[34:35], null, s8, v43, 0
	v_add_nc_u32_e32 v42, 0x510, v9
	v_mul_hi_u32 v38, 0xca4587e7, v7
	v_lshlrev_b64_e32 v[26:27], 2, v[4:5]
	v_add_co_u32 v24, vcc_lo, s4, v24
	s_delay_alu instid0(VALU_DEP_4) | instskip(SKIP_4) | instid1(VALU_DEP_3)
	v_mad_co_u64_u32 v[32:33], null, s8, v42, 0
	v_lshlrev_b32_e32 v4, 1, v8
	s_wait_alu 0xfffd
	v_add_co_ci_u32_e32 v25, vcc_lo, s5, v25, vcc_lo
	v_add_co_u32 v26, vcc_lo, s4, v26
	v_lshlrev_b64_e32 v[4:5], 2, v[4:5]
	s_wait_alu 0xfffd
	v_add_co_ci_u32_e32 v27, vcc_lo, s5, v27, vcc_lo
	global_load_b64 v[24:25], v[24:25], off offset:5120
	v_mul_hi_u32 v39, 0xca4587e7, v6
	v_mad_co_u64_u32 v[36:37], null, s8, v44, 0
	global_load_b64 v[26:27], v[26:27], off offset:5120
	v_add_co_u32 v4, vcc_lo, s4, v4
	s_wait_alu 0xfffd
	v_add_co_ci_u32_e32 v5, vcc_lo, s5, v5, vcc_lo
	s_clause 0x1
	global_load_b64 v[4:5], v[4:5], off offset:5120
	global_load_b64 v[2:3], v[2:3], off offset:5120
	v_add_co_u32 v65, vcc_lo, s10, v0
	s_wait_alu 0xfffd
	v_add_co_ci_u32_e32 v66, vcc_lo, s11, v1, vcc_lo
	v_mad_co_u64_u32 v[0:1], null, s8, v8, 0
	ds_load_u16 v53, v11 offset:4536
	ds_load_u16 v54, v11 offset:3888
	;; [unrolled: 1-line block ×7, first 2 shown]
	ds_load_u16 v60, v11
	ds_load_u16 v61, v11 offset:7128
	ds_load_u16 v62, v11 offset:6480
	;; [unrolled: 1-line block ×4, first 2 shown]
	v_mov_b32_e32 v11, v29
	v_mov_b32_e32 v29, v31
	v_lshrrev_b32_e32 v31, 10, v38
	v_lshrrev_b32_e32 v45, 10, v39
	s_delay_alu instid0(VALU_DEP_4) | instskip(SKIP_4) | instid1(VALU_DEP_4)
	v_mad_co_u64_u32 v[38:39], null, s9, v9, v[11:12]
	v_mov_b32_e32 v9, v33
	v_mov_b32_e32 v11, v35
	v_mad_u32_u24 v49, 0xa20, v31, v7
	v_mad_u32_u24 v50, 0xa20, v45, v6
	v_mad_co_u64_u32 v[6:7], null, s9, v42, v[9:10]
	s_delay_alu instid0(VALU_DEP_1)
	v_dual_mov_b32 v33, v6 :: v_dual_add_nc_u32 v52, 0xa20, v49
	s_wait_loadcnt 0x0
	v_mad_co_u64_u32 v[39:40], null, s9, v8, v[1:2]
	v_mov_b32_e32 v1, v37
	v_mad_co_u64_u32 v[7:8], null, s9, v43, v[11:12]
	v_mad_co_u64_u32 v[40:41], null, s9, v10, v[29:30]
	s_delay_alu instid0(VALU_DEP_3)
	v_mad_co_u64_u32 v[8:9], null, s9, v44, v[1:2]
	v_mad_co_u64_u32 v[9:10], null, s8, v49, 0
	;; [unrolled: 1-line block ×3, first 2 shown]
	v_add_nc_u32_e32 v51, 0x510, v49
	v_dual_mov_b32 v1, v39 :: v_dual_add_nc_u32 v68, 0xa20, v50
	v_mov_b32_e32 v29, v38
	v_dual_mov_b32 v37, v8 :: v_dual_mov_b32 v8, v10
	v_mov_b32_e32 v10, v42
	v_mad_co_u64_u32 v[38:39], null, s8, v51, 0
	v_add_nc_u32_e32 v67, 0x510, v50
	v_mov_b32_e32 v31, v40
	v_mad_co_u64_u32 v[43:44], null, s8, v52, 0
	v_mov_b32_e32 v35, v7
	v_lshlrev_b64_e32 v[28:29], 2, v[28:29]
	s_delay_alu instid0(VALU_DEP_4)
	v_lshlrev_b64_e32 v[6:7], 2, v[30:31]
	v_lshlrev_b64_e32 v[30:31], 2, v[32:33]
	v_mad_co_u64_u32 v[47:48], null, s8, v68, 0
	v_lshlrev_b64_e32 v[32:33], 2, v[34:35]
	v_lshlrev_b64_e32 v[34:35], 2, v[36:37]
	v_mad_co_u64_u32 v[36:37], null, s9, v49, v[8:9]
	v_mov_b32_e32 v8, v39
	v_mad_co_u64_u32 v[45:46], null, s8, v67, 0
	v_mov_b32_e32 v11, v44
	v_lshlrev_b64_e32 v[0:1], 2, v[0:1]
	v_add_co_u32 v28, vcc_lo, v65, v28
	s_wait_alu 0xfffd
	v_add_co_ci_u32_e32 v29, vcc_lo, v66, v29, vcc_lo
	v_mad_co_u64_u32 v[39:40], null, s9, v50, v[10:11]
	v_dual_mov_b32 v10, v46 :: v_dual_mov_b32 v37, v48
	v_add_co_u32 v0, vcc_lo, v65, v0
	v_mad_co_u64_u32 v[48:49], null, s9, v51, v[8:9]
	v_mad_co_u64_u32 v[49:50], null, s9, v52, v[11:12]
	s_wait_alu 0xfffd
	v_add_co_ci_u32_e32 v1, vcc_lo, v66, v1, vcc_lo
	v_mad_co_u64_u32 v[50:51], null, s9, v67, v[10:11]
	v_add_co_u32 v6, vcc_lo, v65, v6
	v_mov_b32_e32 v10, v36
	s_wait_alu 0xfffd
	v_add_co_ci_u32_e32 v7, vcc_lo, v66, v7, vcc_lo
	v_add_co_u32 v30, vcc_lo, v65, v30
	v_mad_co_u64_u32 v[51:52], null, s9, v68, v[37:38]
	v_mov_b32_e32 v42, v39
	s_wait_alu 0xfffd
	v_add_co_ci_u32_e32 v31, vcc_lo, v66, v31, vcc_lo
	v_add_co_u32 v32, vcc_lo, v65, v32
	v_lshlrev_b64_e32 v[8:9], 2, v[9:10]
	v_dual_mov_b32 v39, v48 :: v_dual_mov_b32 v48, v51
	v_mov_b32_e32 v44, v49
	v_mov_b32_e32 v46, v50
	s_wait_alu 0xfffd
	v_add_co_ci_u32_e32 v33, vcc_lo, v66, v33, vcc_lo
	v_add_co_u32 v34, vcc_lo, v65, v34
	v_lshlrev_b64_e32 v[10:11], 2, v[41:42]
	s_wait_alu 0xfffd
	v_add_co_ci_u32_e32 v35, vcc_lo, v66, v35, vcc_lo
	v_lshlrev_b64_e32 v[36:37], 2, v[38:39]
	v_lshlrev_b64_e32 v[38:39], 2, v[43:44]
	;; [unrolled: 1-line block ×3, first 2 shown]
	v_add_co_u32 v8, vcc_lo, v65, v8
	v_lshrrev_b32_e32 v44, 16, v24
	v_lshrrev_b32_e32 v45, 16, v25
	s_wait_alu 0xfffd
	v_add_co_ci_u32_e32 v9, vcc_lo, v66, v9, vcc_lo
	v_add_co_u32 v10, vcc_lo, v65, v10
	v_lshlrev_b64_e32 v[42:43], 2, v[47:48]
	s_wait_alu 0xfffd
	v_add_co_ci_u32_e32 v11, vcc_lo, v66, v11, vcc_lo
	v_mul_f16_e32 v46, v22, v44
	v_mul_f16_e32 v47, v23, v45
	s_wait_dscnt 0xb
	v_mul_f16_e32 v44, v53, v44
	s_wait_dscnt 0x3
	v_mul_f16_e32 v45, v61, v45
	v_lshrrev_b32_e32 v48, 16, v26
	v_lshrrev_b32_e32 v49, 16, v27
	v_add_co_u32 v36, vcc_lo, v65, v36
	s_wait_alu 0xfffd
	v_add_co_ci_u32_e32 v37, vcc_lo, v66, v37, vcc_lo
	v_add_co_u32 v38, vcc_lo, v65, v38
	v_fma_f16 v46, v24, v53, -v46
	v_fma_f16 v47, v25, v61, -v47
	v_fmac_f16_e32 v44, v22, v24
	v_fmac_f16_e32 v45, v23, v25
	v_mul_f16_e32 v22, v20, v48
	v_mul_f16_e32 v23, v21, v49
	;; [unrolled: 1-line block ×3, first 2 shown]
	s_wait_dscnt 0x2
	v_mul_f16_e32 v25, v62, v49
	v_lshrrev_b32_e32 v48, 16, v4
	v_lshrrev_b32_e32 v49, 16, v5
	;; [unrolled: 1-line block ×4, first 2 shown]
	s_wait_alu 0xfffd
	v_add_co_ci_u32_e32 v39, vcc_lo, v66, v39, vcc_lo
	v_add_co_u32 v40, vcc_lo, v65, v40
	s_wait_alu 0xfffd
	v_add_co_ci_u32_e32 v41, vcc_lo, v66, v41, vcc_lo
	v_add_co_u32 v42, vcc_lo, v65, v42
	v_add_f16_e32 v52, v46, v47
	v_sub_f16_e32 v53, v44, v45
	v_add_f16_e32 v61, v44, v45
	v_sub_f16_e32 v65, v46, v47
	v_add_f16_e32 v46, v57, v46
	v_add_f16_e32 v44, v19, v44
	v_fma_f16 v22, v26, v54, -v22
	v_fma_f16 v23, v27, v62, -v23
	v_fmac_f16_e32 v24, v20, v26
	v_fmac_f16_e32 v25, v21, v27
	v_mul_f16_e32 v20, v15, v48
	v_mul_f16_e32 v21, v18, v49
	;; [unrolled: 1-line block ×3, first 2 shown]
	s_wait_dscnt 0x1
	v_mul_f16_e32 v27, v63, v49
	v_mul_f16_e32 v48, v16, v50
	;; [unrolled: 1-line block ×4, first 2 shown]
	s_wait_dscnt 0x0
	v_mul_f16_e32 v51, v64, v51
	v_fma_f16 v52, -0.5, v52, v57
	v_add_f16_e32 v46, v46, v47
	v_add_f16_e32 v44, v44, v45
	v_add_f16_e32 v45, v22, v23
	v_sub_f16_e32 v47, v24, v25
	v_add_f16_e32 v54, v24, v25
	v_sub_f16_e32 v57, v22, v23
	v_add_f16_e32 v22, v58, v22
	v_add_f16_e32 v24, v14, v24
	v_fma_f16 v20, v4, v55, -v20
	v_fma_f16 v21, v5, v63, -v21
	v_fmac_f16_e32 v26, v15, v4
	v_fmac_f16_e32 v27, v18, v5
	v_fma_f16 v4, v2, v56, -v48
	v_fma_f16 v5, v3, v64, -v49
	v_fmac_f16_e32 v50, v16, v2
	v_fmac_f16_e32 v51, v17, v3
	v_fma_f16 v19, -0.5, v61, v19
	v_add_f16_e32 v16, v22, v23
	v_add_f16_e32 v17, v24, v25
	;; [unrolled: 1-line block ×3, first 2 shown]
	v_sub_f16_e32 v22, v26, v27
	v_add_f16_e32 v23, v26, v27
	v_add_f16_e32 v25, v13, v26
	;; [unrolled: 1-line block ×4, first 2 shown]
	v_fma_f16 v15, -0.5, v45, v58
	v_sub_f16_e32 v45, v50, v51
	v_sub_f16_e32 v49, v4, v5
	v_add_f16_e32 v4, v60, v4
	v_add_f16_e32 v50, v12, v50
	v_fmamk_f16 v2, v53, 0xbaee, v52
	v_fmamk_f16 v3, v65, 0x3aee, v19
	v_fmac_f16_e32 v52, 0x3aee, v53
	v_fmac_f16_e32 v19, 0xbaee, v65
	v_sub_f16_e32 v24, v20, v21
	v_fma_f16 v18, -0.5, v18, v59
	v_fma_f16 v13, -0.5, v23, v13
	v_fma_f16 v23, -0.5, v26, v60
	v_fma_f16 v12, -0.5, v48, v12
	v_add_f16_e32 v20, v59, v20
	v_add_f16_e32 v4, v4, v5
	v_add_f16_e32 v5, v50, v51
	v_fma_f16 v14, -0.5, v54, v14
	v_pack_b32_f16 v16, v17, v16
	v_pack_b32_f16 v17, v19, v52
	;; [unrolled: 1-line block ×3, first 2 shown]
	v_fmamk_f16 v3, v22, 0xbaee, v18
	v_fmamk_f16 v19, v24, 0x3aee, v13
	v_fmac_f16_e32 v18, 0x3aee, v22
	v_fmac_f16_e32 v13, 0xbaee, v24
	v_fmamk_f16 v22, v45, 0xbaee, v23
	v_fmamk_f16 v24, v49, 0x3aee, v12
	v_fmac_f16_e32 v23, 0x3aee, v45
	v_fmac_f16_e32 v12, 0xbaee, v49
	v_add_f16_e32 v20, v20, v21
	v_add_f16_e32 v21, v25, v27
	v_pack_b32_f16 v4, v5, v4
	v_pack_b32_f16 v44, v44, v46
	v_fmamk_f16 v46, v47, 0xbaee, v15
	v_fmamk_f16 v53, v57, 0x3aee, v14
	v_fmac_f16_e32 v15, 0x3aee, v47
	v_fmac_f16_e32 v14, 0xbaee, v57
	v_pack_b32_f16 v12, v12, v23
	v_pack_b32_f16 v5, v21, v20
	;; [unrolled: 1-line block ×3, first 2 shown]
	global_store_b32 v[28:29], v4, off
	v_pack_b32_f16 v4, v13, v18
	v_pack_b32_f16 v3, v19, v3
	s_wait_alu 0xfffd
	v_add_co_ci_u32_e32 v43, vcc_lo, v66, v43, vcc_lo
	v_pack_b32_f16 v14, v14, v15
	v_pack_b32_f16 v15, v53, v46
	s_clause 0xa
	global_store_b32 v[30:31], v12, off
	global_store_b32 v[32:33], v20, off
	;; [unrolled: 1-line block ×11, first 2 shown]
.LBB0_17:
	s_nop 0
	s_sendmsg sendmsg(MSG_DEALLOC_VGPRS)
	s_endpgm
	.section	.rodata,"a",@progbits
	.p2align	6, 0x0
	.amdhsa_kernel fft_rtc_back_len3888_factors_16_3_3_3_3_3_wgs_324_tpt_324_halfLds_half_ip_CI_sbrr_dirReg
		.amdhsa_group_segment_fixed_size 0
		.amdhsa_private_segment_fixed_size 0
		.amdhsa_kernarg_size 88
		.amdhsa_user_sgpr_count 2
		.amdhsa_user_sgpr_dispatch_ptr 0
		.amdhsa_user_sgpr_queue_ptr 0
		.amdhsa_user_sgpr_kernarg_segment_ptr 1
		.amdhsa_user_sgpr_dispatch_id 0
		.amdhsa_user_sgpr_private_segment_size 0
		.amdhsa_wavefront_size32 1
		.amdhsa_uses_dynamic_stack 0
		.amdhsa_enable_private_segment 0
		.amdhsa_system_sgpr_workgroup_id_x 1
		.amdhsa_system_sgpr_workgroup_id_y 0
		.amdhsa_system_sgpr_workgroup_id_z 0
		.amdhsa_system_sgpr_workgroup_info 0
		.amdhsa_system_vgpr_workitem_id 0
		.amdhsa_next_free_vgpr 71
		.amdhsa_next_free_sgpr 35
		.amdhsa_reserve_vcc 1
		.amdhsa_float_round_mode_32 0
		.amdhsa_float_round_mode_16_64 0
		.amdhsa_float_denorm_mode_32 3
		.amdhsa_float_denorm_mode_16_64 3
		.amdhsa_fp16_overflow 0
		.amdhsa_workgroup_processor_mode 1
		.amdhsa_memory_ordered 1
		.amdhsa_forward_progress 0
		.amdhsa_round_robin_scheduling 0
		.amdhsa_exception_fp_ieee_invalid_op 0
		.amdhsa_exception_fp_denorm_src 0
		.amdhsa_exception_fp_ieee_div_zero 0
		.amdhsa_exception_fp_ieee_overflow 0
		.amdhsa_exception_fp_ieee_underflow 0
		.amdhsa_exception_fp_ieee_inexact 0
		.amdhsa_exception_int_div_zero 0
	.end_amdhsa_kernel
	.text
.Lfunc_end0:
	.size	fft_rtc_back_len3888_factors_16_3_3_3_3_3_wgs_324_tpt_324_halfLds_half_ip_CI_sbrr_dirReg, .Lfunc_end0-fft_rtc_back_len3888_factors_16_3_3_3_3_3_wgs_324_tpt_324_halfLds_half_ip_CI_sbrr_dirReg
                                        ; -- End function
	.section	.AMDGPU.csdata,"",@progbits
; Kernel info:
; codeLenInByte = 11036
; NumSgprs: 37
; NumVgprs: 71
; ScratchSize: 0
; MemoryBound: 0
; FloatMode: 240
; IeeeMode: 1
; LDSByteSize: 0 bytes/workgroup (compile time only)
; SGPRBlocks: 4
; VGPRBlocks: 8
; NumSGPRsForWavesPerEU: 37
; NumVGPRsForWavesPerEU: 71
; Occupancy: 14
; WaveLimiterHint : 1
; COMPUTE_PGM_RSRC2:SCRATCH_EN: 0
; COMPUTE_PGM_RSRC2:USER_SGPR: 2
; COMPUTE_PGM_RSRC2:TRAP_HANDLER: 0
; COMPUTE_PGM_RSRC2:TGID_X_EN: 1
; COMPUTE_PGM_RSRC2:TGID_Y_EN: 0
; COMPUTE_PGM_RSRC2:TGID_Z_EN: 0
; COMPUTE_PGM_RSRC2:TIDIG_COMP_CNT: 0
	.text
	.p2alignl 7, 3214868480
	.fill 96, 4, 3214868480
	.type	__hip_cuid_df8187893159c8ca,@object ; @__hip_cuid_df8187893159c8ca
	.section	.bss,"aw",@nobits
	.globl	__hip_cuid_df8187893159c8ca
__hip_cuid_df8187893159c8ca:
	.byte	0                               ; 0x0
	.size	__hip_cuid_df8187893159c8ca, 1

	.ident	"AMD clang version 19.0.0git (https://github.com/RadeonOpenCompute/llvm-project roc-6.4.0 25133 c7fe45cf4b819c5991fe208aaa96edf142730f1d)"
	.section	".note.GNU-stack","",@progbits
	.addrsig
	.addrsig_sym __hip_cuid_df8187893159c8ca
	.amdgpu_metadata
---
amdhsa.kernels:
  - .args:
      - .actual_access:  read_only
        .address_space:  global
        .offset:         0
        .size:           8
        .value_kind:     global_buffer
      - .offset:         8
        .size:           8
        .value_kind:     by_value
      - .actual_access:  read_only
        .address_space:  global
        .offset:         16
        .size:           8
        .value_kind:     global_buffer
      - .actual_access:  read_only
        .address_space:  global
        .offset:         24
        .size:           8
        .value_kind:     global_buffer
      - .offset:         32
        .size:           8
        .value_kind:     by_value
      - .actual_access:  read_only
        .address_space:  global
        .offset:         40
        .size:           8
        .value_kind:     global_buffer
      - .actual_access:  read_only
        .address_space:  global
        .offset:         48
        .size:           8
        .value_kind:     global_buffer
      - .offset:         56
        .size:           4
        .value_kind:     by_value
      - .actual_access:  read_only
        .address_space:  global
        .offset:         64
        .size:           8
        .value_kind:     global_buffer
      - .actual_access:  read_only
        .address_space:  global
        .offset:         72
        .size:           8
        .value_kind:     global_buffer
      - .address_space:  global
        .offset:         80
        .size:           8
        .value_kind:     global_buffer
    .group_segment_fixed_size: 0
    .kernarg_segment_align: 8
    .kernarg_segment_size: 88
    .language:       OpenCL C
    .language_version:
      - 2
      - 0
    .max_flat_workgroup_size: 324
    .name:           fft_rtc_back_len3888_factors_16_3_3_3_3_3_wgs_324_tpt_324_halfLds_half_ip_CI_sbrr_dirReg
    .private_segment_fixed_size: 0
    .sgpr_count:     37
    .sgpr_spill_count: 0
    .symbol:         fft_rtc_back_len3888_factors_16_3_3_3_3_3_wgs_324_tpt_324_halfLds_half_ip_CI_sbrr_dirReg.kd
    .uniform_work_group_size: 1
    .uses_dynamic_stack: false
    .vgpr_count:     71
    .vgpr_spill_count: 0
    .wavefront_size: 32
    .workgroup_processor_mode: 1
amdhsa.target:   amdgcn-amd-amdhsa--gfx1201
amdhsa.version:
  - 1
  - 2
...

	.end_amdgpu_metadata
